;; amdgpu-corpus repo=zjin-lcf/HeCBench kind=compiled arch=gfx906 opt=O3
	.amdgcn_target "amdgcn-amd-amdhsa--gfx906"
	.amdhsa_code_object_version 6
	.text
	.protected	_Z19kernel_layerforwardPKfPfS1_i ; -- Begin function _Z19kernel_layerforwardPKfPfS1_i
	.globl	_Z19kernel_layerforwardPKfPfS1_i
	.p2align	8
	.type	_Z19kernel_layerforwardPKfPfS1_i,@function
_Z19kernel_layerforwardPKfPfS1_i:       ; @_Z19kernel_layerforwardPKfPfS1_i
; %bb.0:
	s_load_dwordx2 s[2:3], s[4:5], 0x8
	v_lshl_add_u32 v2, s7, 4, v1
	v_cmp_eq_u32_e32 vcc, 0, v0
	v_lshlrev_b32_e32 v5, 2, v1
	s_and_saveexec_b64 s[8:9], vcc
	s_cbranch_execz .LBB0_2
; %bb.1:
	s_load_dwordx2 s[0:1], s[4:5], 0x0
	v_ashrrev_i32_e32 v3, 31, v2
	v_lshlrev_b64 v[3:4], 2, v[2:3]
	s_waitcnt lgkmcnt(0)
	v_mov_b32_e32 v6, s1
	v_add_co_u32_e64 v3, s[0:1], s0, v3
	v_addc_co_u32_e64 v4, s[0:1], v6, v4, s[0:1]
	global_load_dword v3, v[3:4], off offset:4
	s_waitcnt vmcnt(0)
	ds_write_b32 v5, v3 offset:1024
.LBB0_2:
	s_or_b64 exec, exec, s[8:9]
	s_load_dword s6, s[4:5], 0x18
	s_waitcnt lgkmcnt(0)
	v_mov_b32_e32 v4, s3
	s_barrier
	s_add_i32 s0, s6, 1
	v_mul_lo_u32 v2, v2, s0
	v_add_u32_e32 v3, s0, v0
	v_lshlrev_b32_e32 v0, 2, v0
	v_add3_u32 v2, v3, v2, 1
	v_ashrrev_i32_e32 v3, 31, v2
	v_lshlrev_b64 v[2:3], 2, v[2:3]
	v_add_co_u32_e64 v2, s[0:1], s2, v2
	v_addc_co_u32_e64 v3, s[0:1], v4, v3, s[0:1]
	global_load_dword v6, v[2:3], off
	v_lshlrev_b32_e32 v4, 6, v1
	v_add_u32_e32 v0, v4, v0
	s_waitcnt vmcnt(0)
	ds_write_b32 v0, v6
	s_waitcnt lgkmcnt(0)
	s_barrier
	ds_read_b32 v6, v0
	ds_read_b32 v5, v5 offset:1024
	s_waitcnt lgkmcnt(0)
	v_mul_f32_e32 v5, v6, v5
	ds_write_b32 v0, v5
	s_waitcnt lgkmcnt(0)
	s_barrier
	ds_read_b32 v5, v0
	v_and_b32_e32 v6, 1, v1
	v_cmp_eq_u32_e64 s[0:1], 0, v6
	s_waitcnt lgkmcnt(0)
	v_add_f32_e32 v5, v5, v5
	ds_write_b32 v0, v5
	s_waitcnt lgkmcnt(0)
	s_barrier
	s_and_saveexec_b64 s[2:3], s[0:1]
	s_cbranch_execz .LBB0_4
; %bb.3:
	ds_read2_b32 v[5:6], v0 offset1:16
	s_waitcnt lgkmcnt(0)
	v_add_f32_e32 v5, v5, v6
	ds_write_b32 v0, v5
.LBB0_4:
	s_or_b64 exec, exec, s[2:3]
	v_and_b32_e32 v5, 3, v1
	v_cmp_eq_u32_e64 s[0:1], 0, v5
	s_waitcnt lgkmcnt(0)
	s_barrier
	s_and_saveexec_b64 s[2:3], s[0:1]
	s_cbranch_execz .LBB0_6
; %bb.5:
	ds_read2_b32 v[5:6], v0 offset1:32
	s_waitcnt lgkmcnt(0)
	v_add_f32_e32 v5, v5, v6
	ds_write_b32 v0, v5
.LBB0_6:
	s_or_b64 exec, exec, s[2:3]
	v_and_b32_e32 v5, 7, v1
	v_cmp_eq_u32_e64 s[0:1], 0, v5
	s_waitcnt lgkmcnt(0)
	s_barrier
	s_and_saveexec_b64 s[2:3], s[0:1]
	s_cbranch_execz .LBB0_8
; %bb.7:
	ds_read2st64_b32 v[5:6], v0 offset1:1
	s_waitcnt lgkmcnt(0)
	v_add_f32_e32 v5, v5, v6
	ds_write_b32 v0, v5
.LBB0_8:
	s_or_b64 exec, exec, s[2:3]
	v_and_b32_e32 v5, 15, v1
	v_cmp_eq_u32_e64 s[0:1], 0, v5
	s_waitcnt lgkmcnt(0)
	s_barrier
	s_and_saveexec_b64 s[2:3], s[0:1]
	s_cbranch_execz .LBB0_10
; %bb.9:
	ds_read2st64_b32 v[5:6], v0 offset1:2
	s_waitcnt lgkmcnt(0)
	v_add_f32_e32 v5, v5, v6
	ds_write_b32 v0, v5
.LBB0_10:
	s_or_b64 exec, exec, s[2:3]
	s_waitcnt lgkmcnt(0)
	s_barrier
	ds_read_b32 v0, v0
	s_waitcnt lgkmcnt(0)
	global_store_dword v[2:3], v0, off
	s_waitcnt vmcnt(0)
	s_barrier
	s_and_saveexec_b64 s[0:1], vcc
	s_cbranch_execz .LBB0_12
; %bb.11:
	s_movk_i32 s2, 0xffc4
	s_load_dwordx2 s[0:1], s[4:5], 0x10
	v_mad_i32_i24 v0, v1, s2, v4
	s_mul_i32 s6, s6, s7
	ds_read_b32 v2, v0
	v_add_u32_e32 v0, s6, v1
	v_ashrrev_i32_e32 v1, 31, v0
	v_lshlrev_b64 v[0:1], 2, v[0:1]
	s_waitcnt lgkmcnt(0)
	v_mov_b32_e32 v3, s1
	v_add_co_u32_e32 v0, vcc, s0, v0
	v_addc_co_u32_e32 v1, vcc, v3, v1, vcc
	global_store_dword v[0:1], v2, off
.LBB0_12:
	s_endpgm
	.section	.rodata,"a",@progbits
	.p2align	6, 0x0
	.amdhsa_kernel _Z19kernel_layerforwardPKfPfS1_i
		.amdhsa_group_segment_fixed_size 1088
		.amdhsa_private_segment_fixed_size 0
		.amdhsa_kernarg_size 28
		.amdhsa_user_sgpr_count 6
		.amdhsa_user_sgpr_private_segment_buffer 1
		.amdhsa_user_sgpr_dispatch_ptr 0
		.amdhsa_user_sgpr_queue_ptr 0
		.amdhsa_user_sgpr_kernarg_segment_ptr 1
		.amdhsa_user_sgpr_dispatch_id 0
		.amdhsa_user_sgpr_flat_scratch_init 0
		.amdhsa_user_sgpr_private_segment_size 0
		.amdhsa_uses_dynamic_stack 0
		.amdhsa_system_sgpr_private_segment_wavefront_offset 0
		.amdhsa_system_sgpr_workgroup_id_x 1
		.amdhsa_system_sgpr_workgroup_id_y 1
		.amdhsa_system_sgpr_workgroup_id_z 0
		.amdhsa_system_sgpr_workgroup_info 0
		.amdhsa_system_vgpr_workitem_id 1
		.amdhsa_next_free_vgpr 7
		.amdhsa_next_free_sgpr 10
		.amdhsa_reserve_vcc 1
		.amdhsa_reserve_flat_scratch 0
		.amdhsa_float_round_mode_32 0
		.amdhsa_float_round_mode_16_64 0
		.amdhsa_float_denorm_mode_32 3
		.amdhsa_float_denorm_mode_16_64 3
		.amdhsa_dx10_clamp 1
		.amdhsa_ieee_mode 1
		.amdhsa_fp16_overflow 0
		.amdhsa_exception_fp_ieee_invalid_op 0
		.amdhsa_exception_fp_denorm_src 0
		.amdhsa_exception_fp_ieee_div_zero 0
		.amdhsa_exception_fp_ieee_overflow 0
		.amdhsa_exception_fp_ieee_underflow 0
		.amdhsa_exception_fp_ieee_inexact 0
		.amdhsa_exception_int_div_zero 0
	.end_amdhsa_kernel
	.text
.Lfunc_end0:
	.size	_Z19kernel_layerforwardPKfPfS1_i, .Lfunc_end0-_Z19kernel_layerforwardPKfPfS1_i
                                        ; -- End function
	.set _Z19kernel_layerforwardPKfPfS1_i.num_vgpr, 7
	.set _Z19kernel_layerforwardPKfPfS1_i.num_agpr, 0
	.set _Z19kernel_layerforwardPKfPfS1_i.numbered_sgpr, 10
	.set _Z19kernel_layerforwardPKfPfS1_i.num_named_barrier, 0
	.set _Z19kernel_layerforwardPKfPfS1_i.private_seg_size, 0
	.set _Z19kernel_layerforwardPKfPfS1_i.uses_vcc, 1
	.set _Z19kernel_layerforwardPKfPfS1_i.uses_flat_scratch, 0
	.set _Z19kernel_layerforwardPKfPfS1_i.has_dyn_sized_stack, 0
	.set _Z19kernel_layerforwardPKfPfS1_i.has_recursion, 0
	.set _Z19kernel_layerforwardPKfPfS1_i.has_indirect_call, 0
	.section	.AMDGPU.csdata,"",@progbits
; Kernel info:
; codeLenInByte = 620
; TotalNumSgprs: 14
; NumVgprs: 7
; ScratchSize: 0
; MemoryBound: 0
; FloatMode: 240
; IeeeMode: 1
; LDSByteSize: 1088 bytes/workgroup (compile time only)
; SGPRBlocks: 1
; VGPRBlocks: 1
; NumSGPRsForWavesPerEU: 14
; NumVGPRsForWavesPerEU: 7
; Occupancy: 10
; WaveLimiterHint : 0
; COMPUTE_PGM_RSRC2:SCRATCH_EN: 0
; COMPUTE_PGM_RSRC2:USER_SGPR: 6
; COMPUTE_PGM_RSRC2:TRAP_HANDLER: 0
; COMPUTE_PGM_RSRC2:TGID_X_EN: 1
; COMPUTE_PGM_RSRC2:TGID_Y_EN: 1
; COMPUTE_PGM_RSRC2:TGID_Z_EN: 0
; COMPUTE_PGM_RSRC2:TIDIG_COMP_CNT: 1
	.text
	.protected	_Z21kernel_adjust_weightsPKfPfS0_S1_i ; -- Begin function _Z21kernel_adjust_weightsPKfPfS0_S1_i
	.globl	_Z21kernel_adjust_weightsPKfPfS0_S1_i
	.p2align	8
	.type	_Z21kernel_adjust_weightsPKfPfS0_S1_i,@function
_Z21kernel_adjust_weightsPKfPfS0_S1_i:  ; @_Z21kernel_adjust_weightsPKfPfS0_S1_i
; %bb.0:
	s_load_dword s0, s[4:5], 0x20
	s_load_dwordx8 s[8:15], s[4:5], 0x0
	v_lshl_add_u32 v3, s7, 4, v1
	v_lshlrev_b32_e32 v2, 2, v0
	v_or_b32_e32 v1, s7, v1
	s_waitcnt lgkmcnt(0)
	s_add_i32 s0, s0, 1
	v_mul_lo_u32 v4, v3, s0
	v_add_u32_e32 v0, s0, v0
	v_mov_b32_e32 v6, s9
	v_mov_b32_e32 v9, s11
	v_add3_u32 v5, v0, v4, 1
	v_ashrrev_i32_e32 v4, 31, v3
	v_lshlrev_b64 v[3:4], 2, v[3:4]
	global_load_dword v0, v2, s[12:13] offset:4
	v_add_co_u32_e32 v3, vcc, s8, v3
	v_addc_co_u32_e32 v4, vcc, v6, v4, vcc
	v_ashrrev_i32_e32 v6, 31, v5
	global_load_dword v7, v[3:4], off offset:4
	v_lshlrev_b64 v[3:4], 2, v[5:6]
	v_mov_b32_e32 v6, s15
	v_add_co_u32_e32 v5, vcc, s14, v3
	v_addc_co_u32_e32 v6, vcc, v6, v4, vcc
	global_load_dword v8, v[5:6], off
	v_add_co_u32_e32 v3, vcc, s10, v3
	v_addc_co_u32_e32 v4, vcc, v9, v4, vcc
	global_load_dword v9, v[3:4], off
	v_cmp_eq_u32_e32 vcc, 0, v1
	s_waitcnt vmcnt(3)
	v_mul_f32_e32 v0, 0x3e99999a, v0
	s_waitcnt vmcnt(1)
	v_mul_f32_e32 v8, 0x3e99999a, v8
	v_fmac_f32_e32 v8, v0, v7
	s_waitcnt vmcnt(0)
	v_add_f32_e32 v7, v9, v8
	global_store_dword v[5:6], v8, off
	global_store_dword v[3:4], v7, off
	s_waitcnt vmcnt(0)
	s_barrier
	s_and_saveexec_b64 s[0:1], vcc
	s_cbranch_execz .LBB1_2
; %bb.1:
	global_load_dword v1, v2, s[14:15] offset:4
	global_load_dword v3, v2, s[10:11] offset:4
	s_waitcnt vmcnt(1)
	v_fmac_f32_e32 v0, 0x3e99999a, v1
	s_waitcnt vmcnt(0)
	v_add_f32_e32 v1, v3, v0
	global_store_dword v2, v1, s[10:11] offset:4
	global_store_dword v2, v0, s[14:15] offset:4
.LBB1_2:
	s_endpgm
	.section	.rodata,"a",@progbits
	.p2align	6, 0x0
	.amdhsa_kernel _Z21kernel_adjust_weightsPKfPfS0_S1_i
		.amdhsa_group_segment_fixed_size 0
		.amdhsa_private_segment_fixed_size 0
		.amdhsa_kernarg_size 36
		.amdhsa_user_sgpr_count 6
		.amdhsa_user_sgpr_private_segment_buffer 1
		.amdhsa_user_sgpr_dispatch_ptr 0
		.amdhsa_user_sgpr_queue_ptr 0
		.amdhsa_user_sgpr_kernarg_segment_ptr 1
		.amdhsa_user_sgpr_dispatch_id 0
		.amdhsa_user_sgpr_flat_scratch_init 0
		.amdhsa_user_sgpr_private_segment_size 0
		.amdhsa_uses_dynamic_stack 0
		.amdhsa_system_sgpr_private_segment_wavefront_offset 0
		.amdhsa_system_sgpr_workgroup_id_x 1
		.amdhsa_system_sgpr_workgroup_id_y 1
		.amdhsa_system_sgpr_workgroup_id_z 0
		.amdhsa_system_sgpr_workgroup_info 0
		.amdhsa_system_vgpr_workitem_id 1
		.amdhsa_next_free_vgpr 10
		.amdhsa_next_free_sgpr 16
		.amdhsa_reserve_vcc 1
		.amdhsa_reserve_flat_scratch 0
		.amdhsa_float_round_mode_32 0
		.amdhsa_float_round_mode_16_64 0
		.amdhsa_float_denorm_mode_32 3
		.amdhsa_float_denorm_mode_16_64 3
		.amdhsa_dx10_clamp 1
		.amdhsa_ieee_mode 1
		.amdhsa_fp16_overflow 0
		.amdhsa_exception_fp_ieee_invalid_op 0
		.amdhsa_exception_fp_denorm_src 0
		.amdhsa_exception_fp_ieee_div_zero 0
		.amdhsa_exception_fp_ieee_overflow 0
		.amdhsa_exception_fp_ieee_underflow 0
		.amdhsa_exception_fp_ieee_inexact 0
		.amdhsa_exception_int_div_zero 0
	.end_amdhsa_kernel
	.text
.Lfunc_end1:
	.size	_Z21kernel_adjust_weightsPKfPfS0_S1_i, .Lfunc_end1-_Z21kernel_adjust_weightsPKfPfS0_S1_i
                                        ; -- End function
	.set _Z21kernel_adjust_weightsPKfPfS0_S1_i.num_vgpr, 10
	.set _Z21kernel_adjust_weightsPKfPfS0_S1_i.num_agpr, 0
	.set _Z21kernel_adjust_weightsPKfPfS0_S1_i.numbered_sgpr, 16
	.set _Z21kernel_adjust_weightsPKfPfS0_S1_i.num_named_barrier, 0
	.set _Z21kernel_adjust_weightsPKfPfS0_S1_i.private_seg_size, 0
	.set _Z21kernel_adjust_weightsPKfPfS0_S1_i.uses_vcc, 1
	.set _Z21kernel_adjust_weightsPKfPfS0_S1_i.uses_flat_scratch, 0
	.set _Z21kernel_adjust_weightsPKfPfS0_S1_i.has_dyn_sized_stack, 0
	.set _Z21kernel_adjust_weightsPKfPfS0_S1_i.has_recursion, 0
	.set _Z21kernel_adjust_weightsPKfPfS0_S1_i.has_indirect_call, 0
	.section	.AMDGPU.csdata,"",@progbits
; Kernel info:
; codeLenInByte = 280
; TotalNumSgprs: 20
; NumVgprs: 10
; ScratchSize: 0
; MemoryBound: 0
; FloatMode: 240
; IeeeMode: 1
; LDSByteSize: 0 bytes/workgroup (compile time only)
; SGPRBlocks: 2
; VGPRBlocks: 2
; NumSGPRsForWavesPerEU: 20
; NumVGPRsForWavesPerEU: 10
; Occupancy: 10
; WaveLimiterHint : 0
; COMPUTE_PGM_RSRC2:SCRATCH_EN: 0
; COMPUTE_PGM_RSRC2:USER_SGPR: 6
; COMPUTE_PGM_RSRC2:TRAP_HANDLER: 0
; COMPUTE_PGM_RSRC2:TGID_X_EN: 1
; COMPUTE_PGM_RSRC2:TGID_Y_EN: 1
; COMPUTE_PGM_RSRC2:TGID_Z_EN: 0
; COMPUTE_PGM_RSRC2:TIDIG_COMP_CNT: 1
	.section	.AMDGPU.gpr_maximums,"",@progbits
	.set amdgpu.max_num_vgpr, 0
	.set amdgpu.max_num_agpr, 0
	.set amdgpu.max_num_sgpr, 0
	.section	.AMDGPU.csdata,"",@progbits
	.type	__hip_cuid_a61615fa7885f6b3,@object ; @__hip_cuid_a61615fa7885f6b3
	.section	.bss,"aw",@nobits
	.globl	__hip_cuid_a61615fa7885f6b3
__hip_cuid_a61615fa7885f6b3:
	.byte	0                               ; 0x0
	.size	__hip_cuid_a61615fa7885f6b3, 1

	.ident	"AMD clang version 22.0.0git (https://github.com/RadeonOpenCompute/llvm-project roc-7.2.4 26084 f58b06dce1f9c15707c5f808fd002e18c2accf7e)"
	.section	".note.GNU-stack","",@progbits
	.addrsig
	.addrsig_sym __hip_cuid_a61615fa7885f6b3
	.amdgpu_metadata
---
amdhsa.kernels:
  - .args:
      - .actual_access:  read_only
        .address_space:  global
        .offset:         0
        .size:           8
        .value_kind:     global_buffer
      - .address_space:  global
        .offset:         8
        .size:           8
        .value_kind:     global_buffer
      - .actual_access:  write_only
        .address_space:  global
        .offset:         16
        .size:           8
        .value_kind:     global_buffer
      - .offset:         24
        .size:           4
        .value_kind:     by_value
    .group_segment_fixed_size: 1088
    .kernarg_segment_align: 8
    .kernarg_segment_size: 28
    .language:       OpenCL C
    .language_version:
      - 2
      - 0
    .max_flat_workgroup_size: 1024
    .name:           _Z19kernel_layerforwardPKfPfS1_i
    .private_segment_fixed_size: 0
    .sgpr_count:     14
    .sgpr_spill_count: 0
    .symbol:         _Z19kernel_layerforwardPKfPfS1_i.kd
    .uniform_work_group_size: 1
    .uses_dynamic_stack: false
    .vgpr_count:     7
    .vgpr_spill_count: 0
    .wavefront_size: 64
  - .args:
      - .actual_access:  read_only
        .address_space:  global
        .offset:         0
        .size:           8
        .value_kind:     global_buffer
      - .address_space:  global
        .offset:         8
        .size:           8
        .value_kind:     global_buffer
      - .actual_access:  read_only
        .address_space:  global
        .offset:         16
        .size:           8
        .value_kind:     global_buffer
      - .address_space:  global
        .offset:         24
        .size:           8
        .value_kind:     global_buffer
      - .offset:         32
        .size:           4
        .value_kind:     by_value
    .group_segment_fixed_size: 0
    .kernarg_segment_align: 8
    .kernarg_segment_size: 36
    .language:       OpenCL C
    .language_version:
      - 2
      - 0
    .max_flat_workgroup_size: 1024
    .name:           _Z21kernel_adjust_weightsPKfPfS0_S1_i
    .private_segment_fixed_size: 0
    .sgpr_count:     20
    .sgpr_spill_count: 0
    .symbol:         _Z21kernel_adjust_weightsPKfPfS0_S1_i.kd
    .uniform_work_group_size: 1
    .uses_dynamic_stack: false
    .vgpr_count:     10
    .vgpr_spill_count: 0
    .wavefront_size: 64
amdhsa.target:   amdgcn-amd-amdhsa--gfx906
amdhsa.version:
  - 1
  - 2
...

	.end_amdgpu_metadata
